;; amdgpu-corpus repo=ROCm/rocFFT kind=compiled arch=gfx906 opt=O3
	.text
	.amdgcn_target "amdgcn-amd-amdhsa--gfx906"
	.amdhsa_code_object_version 6
	.protected	fft_rtc_fwd_len160_factors_4_10_4_wgs_192_tpt_16_half_ip_CI_sbcc ; -- Begin function fft_rtc_fwd_len160_factors_4_10_4_wgs_192_tpt_16_half_ip_CI_sbcc
	.globl	fft_rtc_fwd_len160_factors_4_10_4_wgs_192_tpt_16_half_ip_CI_sbcc
	.p2align	8
	.type	fft_rtc_fwd_len160_factors_4_10_4_wgs_192_tpt_16_half_ip_CI_sbcc,@function
fft_rtc_fwd_len160_factors_4_10_4_wgs_192_tpt_16_half_ip_CI_sbcc: ; @fft_rtc_fwd_len160_factors_4_10_4_wgs_192_tpt_16_half_ip_CI_sbcc
; %bb.0:
	s_load_dwordx4 s[0:3], s[4:5], 0x18
	s_mov_b32 s7, 0
	s_mov_b64 s[22:23], 0
	s_waitcnt lgkmcnt(0)
	s_load_dwordx2 s[16:17], s[0:1], 0x8
	s_waitcnt lgkmcnt(0)
	s_add_u32 s8, s16, -1
	s_addc_u32 s9, s17, -1
	s_add_u32 s10, 0, 0x55540000
	s_addc_u32 s11, 0, 0x55
	s_mul_hi_u32 s13, s10, -12
	s_add_i32 s11, s11, 0x15555500
	s_sub_i32 s13, s13, s10
	s_mul_i32 s18, s11, -12
	s_mul_i32 s12, s10, -12
	s_add_i32 s13, s13, s18
	s_mul_hi_u32 s14, s11, s12
	s_mul_i32 s15, s11, s12
	s_mul_i32 s19, s10, s13
	s_mul_hi_u32 s12, s10, s12
	s_mul_hi_u32 s18, s10, s13
	s_add_u32 s12, s12, s19
	s_addc_u32 s18, 0, s18
	s_add_u32 s12, s12, s15
	s_mul_hi_u32 s19, s11, s13
	s_addc_u32 s12, s18, s14
	s_addc_u32 s14, s19, 0
	s_mul_i32 s13, s11, s13
	s_add_u32 s12, s12, s13
	v_mov_b32_e32 v1, s12
	s_addc_u32 s13, 0, s14
	v_add_co_u32_e32 v1, vcc, s10, v1
	s_cmp_lg_u64 vcc, 0
	s_addc_u32 s10, s11, s13
	v_readfirstlane_b32 s13, v1
	s_mul_i32 s12, s8, s10
	s_mul_hi_u32 s14, s8, s13
	s_mul_hi_u32 s11, s8, s10
	s_add_u32 s12, s14, s12
	s_addc_u32 s11, 0, s11
	s_mul_hi_u32 s15, s9, s13
	s_mul_i32 s13, s9, s13
	s_add_u32 s12, s12, s13
	s_mul_hi_u32 s14, s9, s10
	s_addc_u32 s11, s11, s15
	s_addc_u32 s12, s14, 0
	s_mul_i32 s10, s9, s10
	s_add_u32 s10, s11, s10
	s_addc_u32 s11, 0, s12
	s_add_u32 s12, s10, 1
	s_addc_u32 s13, s11, 0
	s_add_u32 s14, s10, 2
	s_mul_i32 s18, s11, 12
	s_mul_hi_u32 s19, s10, 12
	s_addc_u32 s15, s11, 0
	s_add_i32 s19, s19, s18
	s_mul_i32 s18, s10, 12
	v_mov_b32_e32 v1, s18
	v_sub_co_u32_e32 v1, vcc, s8, v1
	s_cmp_lg_u64 vcc, 0
	s_subb_u32 s8, s9, s19
	v_subrev_co_u32_e32 v2, vcc, 12, v1
	s_cmp_lg_u64 vcc, 0
	s_subb_u32 s9, s8, 0
	v_readfirstlane_b32 s18, v2
	s_cmp_gt_u32 s18, 11
	s_cselect_b32 s18, -1, 0
	s_cmp_eq_u32 s9, 0
	s_cselect_b32 s9, s18, -1
	s_cmp_lg_u32 s9, 0
	s_cselect_b32 s9, s14, s12
	s_cselect_b32 s12, s15, s13
	v_readfirstlane_b32 s13, v1
	s_cmp_gt_u32 s13, 11
	s_cselect_b32 s13, -1, 0
	s_cmp_eq_u32 s8, 0
	s_cselect_b32 s8, s13, -1
	s_cmp_lg_u32 s8, 0
	s_cselect_b32 s9, s9, s10
	s_cselect_b32 s8, s12, s11
	s_add_u32 s18, s9, 1
	s_addc_u32 s19, s8, 0
	v_mov_b32_e32 v1, s18
	v_mov_b32_e32 v2, s19
	v_cmp_lt_u64_e32 vcc, s[6:7], v[1:2]
	s_cbranch_vccnz .LBB0_2
; %bb.1:
	v_cvt_f32_u32_e32 v1, s18
	s_sub_i32 s8, 0, s18
	s_mov_b32 s23, s7
	v_rcp_iflag_f32_e32 v1, v1
	v_mul_f32_e32 v1, 0x4f7ffffe, v1
	v_cvt_u32_f32_e32 v1, v1
	v_readfirstlane_b32 s9, v1
	s_mul_i32 s8, s8, s9
	s_mul_hi_u32 s8, s9, s8
	s_add_i32 s9, s9, s8
	s_mul_hi_u32 s8, s6, s9
	s_mul_i32 s10, s8, s18
	s_sub_i32 s10, s6, s10
	s_add_i32 s9, s8, 1
	s_sub_i32 s11, s10, s18
	s_cmp_ge_u32 s10, s18
	s_cselect_b32 s8, s9, s8
	s_cselect_b32 s10, s11, s10
	s_add_i32 s9, s8, 1
	s_cmp_ge_u32 s10, s18
	s_cselect_b32 s22, s9, s8
.LBB0_2:
	s_load_dwordx2 s[14:15], s[4:5], 0x0
	s_load_dwordx4 s[8:11], s[2:3], 0x0
	s_load_dwordx2 s[12:13], s[4:5], 0x58
	s_load_dwordx2 s[20:21], s[4:5], 0x10
	s_mul_i32 s4, s22, s19
	s_mul_hi_u32 s5, s22, s18
	s_add_i32 s5, s5, s4
	s_mul_i32 s4, s22, s18
	s_sub_u32 s36, s6, s4
	s_subb_u32 s4, 0, s5
	s_mul_i32 s4, s4, 12
	s_mul_hi_u32 s33, s36, 12
	s_add_i32 s33, s33, s4
	s_mul_i32 s36, s36, 12
	s_waitcnt lgkmcnt(0)
	s_mul_i32 s4, s10, s33
	s_mul_hi_u32 s5, s10, s36
	s_add_i32 s4, s5, s4
	s_mul_i32 s5, s11, s36
	s_add_i32 s37, s4, s5
	v_cmp_lt_u64_e64 s[4:5], s[20:21], 3
	s_mul_i32 s38, s10, s36
	s_and_b64 vcc, exec, s[4:5]
	s_cbranch_vccnz .LBB0_12
; %bb.3:
	s_add_u32 s4, s2, 16
	s_addc_u32 s5, s3, 0
	s_add_u32 s24, s0, 16
	v_mov_b32_e32 v1, s20
	s_addc_u32 s25, s1, 0
	s_mov_b64 s[26:27], 2
	s_mov_b32 s28, 0
	v_mov_b32_e32 v2, s21
.LBB0_4:                                ; =>This Inner Loop Header: Depth=1
	s_load_dwordx2 s[30:31], s[24:25], 0x0
	s_waitcnt lgkmcnt(0)
	s_or_b64 s[0:1], s[22:23], s[30:31]
	s_mov_b32 s29, s1
	s_cmp_lg_u64 s[28:29], 0
	s_cbranch_scc0 .LBB0_9
; %bb.5:                                ;   in Loop: Header=BB0_4 Depth=1
	v_cvt_f32_u32_e32 v3, s30
	v_cvt_f32_u32_e32 v4, s31
	s_sub_u32 s0, 0, s30
	s_subb_u32 s1, 0, s31
	v_mac_f32_e32 v3, 0x4f800000, v4
	v_rcp_f32_e32 v3, v3
	v_mul_f32_e32 v3, 0x5f7ffffc, v3
	v_mul_f32_e32 v4, 0x2f800000, v3
	v_trunc_f32_e32 v4, v4
	v_mac_f32_e32 v3, 0xcf800000, v4
	v_cvt_u32_f32_e32 v4, v4
	v_cvt_u32_f32_e32 v3, v3
	v_readfirstlane_b32 s29, v4
	v_readfirstlane_b32 s34, v3
	s_mul_i32 s35, s0, s29
	s_mul_hi_u32 s40, s0, s34
	s_mul_i32 s39, s1, s34
	s_add_i32 s35, s40, s35
	s_mul_i32 s41, s0, s34
	s_add_i32 s35, s35, s39
	s_mul_hi_u32 s39, s34, s35
	s_mul_i32 s40, s34, s35
	s_mul_hi_u32 s34, s34, s41
	s_add_u32 s34, s34, s40
	s_addc_u32 s39, 0, s39
	s_mul_hi_u32 s42, s29, s41
	s_mul_i32 s41, s29, s41
	s_add_u32 s34, s34, s41
	s_mul_hi_u32 s40, s29, s35
	s_addc_u32 s34, s39, s42
	s_addc_u32 s39, s40, 0
	s_mul_i32 s35, s29, s35
	s_add_u32 s34, s34, s35
	s_addc_u32 s35, 0, s39
	v_add_co_u32_e32 v3, vcc, s34, v3
	s_cmp_lg_u64 vcc, 0
	s_addc_u32 s29, s29, s35
	v_readfirstlane_b32 s35, v3
	s_mul_i32 s34, s0, s29
	s_mul_hi_u32 s39, s0, s35
	s_add_i32 s34, s39, s34
	s_mul_i32 s1, s1, s35
	s_add_i32 s34, s34, s1
	s_mul_i32 s0, s0, s35
	s_mul_hi_u32 s39, s29, s0
	s_mul_i32 s40, s29, s0
	s_mul_i32 s42, s35, s34
	s_mul_hi_u32 s0, s35, s0
	s_mul_hi_u32 s41, s35, s34
	s_add_u32 s0, s0, s42
	s_addc_u32 s35, 0, s41
	s_add_u32 s0, s0, s40
	s_mul_hi_u32 s1, s29, s34
	s_addc_u32 s0, s35, s39
	s_addc_u32 s1, s1, 0
	s_mul_i32 s34, s29, s34
	s_add_u32 s0, s0, s34
	s_addc_u32 s1, 0, s1
	v_add_co_u32_e32 v3, vcc, s0, v3
	s_cmp_lg_u64 vcc, 0
	s_addc_u32 s0, s29, s1
	v_readfirstlane_b32 s34, v3
	s_mul_i32 s29, s22, s0
	s_mul_hi_u32 s35, s22, s34
	s_mul_hi_u32 s1, s22, s0
	s_add_u32 s29, s35, s29
	s_addc_u32 s1, 0, s1
	s_mul_hi_u32 s39, s23, s34
	s_mul_i32 s34, s23, s34
	s_add_u32 s29, s29, s34
	s_mul_hi_u32 s35, s23, s0
	s_addc_u32 s1, s1, s39
	s_addc_u32 s29, s35, 0
	s_mul_i32 s0, s23, s0
	s_add_u32 s34, s1, s0
	s_addc_u32 s29, 0, s29
	s_mul_i32 s0, s30, s29
	s_mul_hi_u32 s1, s30, s34
	s_add_i32 s0, s1, s0
	s_mul_i32 s1, s31, s34
	s_add_i32 s35, s0, s1
	s_mul_i32 s1, s30, s34
	v_mov_b32_e32 v3, s1
	s_sub_i32 s0, s23, s35
	v_sub_co_u32_e32 v3, vcc, s22, v3
	s_cmp_lg_u64 vcc, 0
	s_subb_u32 s39, s0, s31
	v_subrev_co_u32_e64 v4, s[0:1], s30, v3
	s_cmp_lg_u64 s[0:1], 0
	s_subb_u32 s0, s39, 0
	s_cmp_ge_u32 s0, s31
	v_readfirstlane_b32 s39, v4
	s_cselect_b32 s1, -1, 0
	s_cmp_ge_u32 s39, s30
	s_cselect_b32 s39, -1, 0
	s_cmp_eq_u32 s0, s31
	s_cselect_b32 s0, s39, s1
	s_add_u32 s1, s34, 1
	s_addc_u32 s39, s29, 0
	s_add_u32 s40, s34, 2
	s_addc_u32 s41, s29, 0
	s_cmp_lg_u32 s0, 0
	s_cselect_b32 s0, s40, s1
	s_cselect_b32 s1, s41, s39
	s_cmp_lg_u64 vcc, 0
	s_subb_u32 s35, s23, s35
	s_cmp_ge_u32 s35, s31
	v_readfirstlane_b32 s40, v3
	s_cselect_b32 s39, -1, 0
	s_cmp_ge_u32 s40, s30
	s_cselect_b32 s40, -1, 0
	s_cmp_eq_u32 s35, s31
	s_cselect_b32 s35, s40, s39
	s_cmp_lg_u32 s35, 0
	s_cselect_b32 s1, s1, s29
	s_cselect_b32 s0, s0, s34
	s_cbranch_execnz .LBB0_7
.LBB0_6:                                ;   in Loop: Header=BB0_4 Depth=1
	v_cvt_f32_u32_e32 v3, s30
	s_sub_i32 s0, 0, s30
	v_rcp_iflag_f32_e32 v3, v3
	v_mul_f32_e32 v3, 0x4f7ffffe, v3
	v_cvt_u32_f32_e32 v3, v3
	v_readfirstlane_b32 s1, v3
	s_mul_i32 s0, s0, s1
	s_mul_hi_u32 s0, s1, s0
	s_add_i32 s1, s1, s0
	s_mul_hi_u32 s0, s22, s1
	s_mul_i32 s29, s0, s30
	s_sub_i32 s29, s22, s29
	s_add_i32 s1, s0, 1
	s_sub_i32 s34, s29, s30
	s_cmp_ge_u32 s29, s30
	s_cselect_b32 s0, s1, s0
	s_cselect_b32 s29, s34, s29
	s_add_i32 s1, s0, 1
	s_cmp_ge_u32 s29, s30
	s_cselect_b32 s0, s1, s0
	s_mov_b32 s1, s28
.LBB0_7:                                ;   in Loop: Header=BB0_4 Depth=1
	s_mul_i32 s19, s30, s19
	s_mul_hi_u32 s29, s30, s18
	s_add_i32 s19, s29, s19
	s_mul_i32 s29, s31, s18
	s_add_i32 s19, s19, s29
	s_mul_i32 s29, s0, s31
	s_mul_hi_u32 s31, s0, s30
	s_load_dwordx2 s[34:35], s[4:5], 0x0
	s_add_i32 s29, s31, s29
	s_mul_i32 s31, s1, s30
	s_mul_i32 s18, s30, s18
	s_add_i32 s29, s29, s31
	s_mul_i32 s30, s0, s30
	s_sub_u32 s22, s22, s30
	s_subb_u32 s23, s23, s29
	s_waitcnt lgkmcnt(0)
	s_mul_i32 s23, s34, s23
	s_mul_hi_u32 s29, s34, s22
	s_add_i32 s23, s29, s23
	s_mul_i32 s29, s35, s22
	s_add_i32 s23, s23, s29
	s_mul_i32 s22, s34, s22
	s_add_u32 s38, s22, s38
	s_addc_u32 s37, s23, s37
	s_add_u32 s26, s26, 1
	s_addc_u32 s27, s27, 0
	;; [unrolled: 2-line block ×3, first 2 shown]
	v_cmp_ge_u64_e32 vcc, s[26:27], v[1:2]
	s_add_u32 s24, s24, 8
	s_addc_u32 s25, s25, 0
	s_cbranch_vccnz .LBB0_10
; %bb.8:                                ;   in Loop: Header=BB0_4 Depth=1
	s_mov_b64 s[22:23], s[0:1]
	s_branch .LBB0_4
.LBB0_9:                                ;   in Loop: Header=BB0_4 Depth=1
                                        ; implicit-def: $sgpr0_sgpr1
	s_branch .LBB0_6
.LBB0_10:
	v_mov_b32_e32 v1, s18
	v_mov_b32_e32 v2, s19
	v_cmp_lt_u64_e32 vcc, s[6:7], v[1:2]
	s_mov_b64 s[22:23], 0
	s_cbranch_vccnz .LBB0_12
; %bb.11:
	v_cvt_f32_u32_e32 v1, s18
	s_sub_i32 s0, 0, s18
	v_rcp_iflag_f32_e32 v1, v1
	v_mul_f32_e32 v1, 0x4f7ffffe, v1
	v_cvt_u32_f32_e32 v1, v1
	v_readfirstlane_b32 s1, v1
	s_mul_i32 s0, s0, s1
	s_mul_hi_u32 s0, s1, s0
	s_add_i32 s1, s1, s0
	s_mul_hi_u32 s0, s6, s1
	s_mul_i32 s4, s0, s18
	s_sub_i32 s4, s6, s4
	s_add_i32 s1, s0, 1
	s_sub_i32 s5, s4, s18
	s_cmp_ge_u32 s4, s18
	s_cselect_b32 s0, s1, s0
	s_cselect_b32 s4, s5, s4
	s_add_i32 s1, s0, 1
	s_cmp_ge_u32 s4, s18
	s_cselect_b32 s22, s1, s0
.LBB0_12:
	s_lshl_b64 s[0:1], s[20:21], 3
	s_add_u32 s0, s2, s0
	s_addc_u32 s1, s3, s1
	s_load_dwordx2 s[0:1], s[0:1], 0x0
	v_mov_b32_e32 v1, s16
	v_mul_u32_u24_e32 v3, 0x1556, v0
	v_mov_b32_e32 v2, s17
	v_lshrrev_b32_e32 v8, 16, v3
	s_waitcnt lgkmcnt(0)
	s_mul_i32 s1, s1, s22
	s_mul_hi_u32 s2, s0, s22
	s_mul_i32 s0, s0, s22
	s_add_i32 s1, s2, s1
	s_add_u32 s2, s0, s38
	s_addc_u32 s3, s1, s37
	s_add_u32 s0, s36, 12
	s_addc_u32 s1, s33, 0
	v_cmp_le_u64_e32 vcc, s[0:1], v[1:2]
	v_mul_lo_u16_e32 v1, 12, v8
	v_sub_u16_e32 v13, v0, v1
	v_mov_b32_e32 v2, s33
	v_add_co_u32_e64 v1, s[0:1], s36, v13
	v_addc_co_u32_e64 v2, s[0:1], 0, v2, s[0:1]
	v_cmp_gt_u64_e64 s[0:1], s[16:17], v[1:2]
	v_lshlrev_b32_e32 v14, 2, v8
	s_or_b64 s[4:5], vcc, s[0:1]
	v_add_u32_e32 v12, 16, v8
	v_or_b32_e32 v11, 32, v8
	v_add_u32_e32 v10, 48, v8
	v_or_b32_e32 v9, 64, v8
	s_and_saveexec_b64 s[0:1], s[4:5]
	s_cbranch_execz .LBB0_14
; %bb.13:
	v_mad_u64_u32 v[1:2], s[6:7], s10, v13, 0
	v_mad_u64_u32 v[3:4], s[6:7], s8, v8, 0
	v_add_u32_e32 v22, 0x50, v8
	v_or_b32_e32 v24, 0x60, v8
	v_mad_u64_u32 v[5:6], s[6:7], s11, v13, v[2:3]
	v_mov_b32_e32 v2, v4
	v_mad_u64_u32 v[6:7], s[6:7], s9, v8, v[2:3]
	s_lshl_b64 s[6:7], s[2:3], 2
	s_add_u32 s16, s12, s6
	s_addc_u32 s6, s13, s7
	v_mov_b32_e32 v2, v5
	v_mov_b32_e32 v4, v6
	v_mov_b32_e32 v7, s6
	v_mad_u64_u32 v[5:6], s[6:7], s8, v12, 0
	v_lshlrev_b64 v[1:2], 2, v[1:2]
	v_mad_u64_u32 v[15:16], s[6:7], s8, v11, 0
	v_add_co_u32_e32 v31, vcc, s16, v1
	v_addc_co_u32_e32 v32, vcc, v7, v2, vcc
	v_lshlrev_b64 v[1:2], 2, v[3:4]
	v_mov_b32_e32 v3, v6
	v_mad_u64_u32 v[3:4], s[6:7], s9, v12, v[3:4]
	v_add_u32_e32 v26, 0x70, v8
	v_add_co_u32_e32 v1, vcc, v31, v1
	v_mov_b32_e32 v6, v3
	v_lshlrev_b64 v[3:4], 2, v[5:6]
	v_mov_b32_e32 v5, v16
	v_mad_u64_u32 v[5:6], s[6:7], s9, v11, v[5:6]
	v_mad_u64_u32 v[6:7], s[6:7], s8, v10, 0
	v_mov_b32_e32 v16, v5
	v_or_b32_e32 v28, 0x80, v8
	v_mov_b32_e32 v5, v7
	v_mad_u64_u32 v[17:18], s[6:7], s9, v10, v[5:6]
	v_mad_u64_u32 v[18:19], s[6:7], s8, v9, 0
	v_mov_b32_e32 v7, v17
	v_lshlrev_b64 v[5:6], 2, v[6:7]
	v_mov_b32_e32 v7, v19
	v_mad_u64_u32 v[19:20], s[6:7], s9, v9, v[7:8]
	v_mad_u64_u32 v[20:21], s[6:7], s8, v22, 0
	v_addc_co_u32_e32 v2, vcc, v32, v2, vcc
	v_mov_b32_e32 v7, v21
	v_mad_u64_u32 v[21:22], s[6:7], s9, v22, v[7:8]
	v_mad_u64_u32 v[22:23], s[6:7], s8, v24, 0
	v_add_co_u32_e32 v3, vcc, v31, v3
	v_mov_b32_e32 v7, v23
	v_mad_u64_u32 v[23:24], s[6:7], s9, v24, v[7:8]
	v_mad_u64_u32 v[24:25], s[6:7], s8, v26, 0
	v_lshlrev_b64 v[15:16], 2, v[15:16]
	v_addc_co_u32_e32 v4, vcc, v32, v4, vcc
	v_mov_b32_e32 v7, v25
	v_mad_u64_u32 v[25:26], s[6:7], s9, v26, v[7:8]
	v_mad_u64_u32 v[26:27], s[6:7], s8, v28, 0
	v_add_co_u32_e32 v15, vcc, v31, v15
	v_addc_co_u32_e32 v16, vcc, v32, v16, vcc
	v_mov_b32_e32 v7, v27
	v_add_co_u32_e32 v5, vcc, v31, v5
	v_lshlrev_b64 v[17:18], 2, v[18:19]
	v_mad_u64_u32 v[27:28], s[6:7], s9, v28, v[7:8]
	v_add_u32_e32 v30, 0x90, v8
	v_addc_co_u32_e32 v6, vcc, v32, v6, vcc
	v_mad_u64_u32 v[28:29], s[6:7], s8, v30, 0
	v_add_co_u32_e32 v17, vcc, v31, v17
	v_lshlrev_b64 v[19:20], 2, v[20:21]
	v_addc_co_u32_e32 v18, vcc, v32, v18, vcc
	v_add_co_u32_e32 v19, vcc, v31, v19
	v_lshlrev_b64 v[21:22], 2, v[22:23]
	v_addc_co_u32_e32 v20, vcc, v32, v20, vcc
	v_mov_b32_e32 v7, v29
	v_add_co_u32_e32 v21, vcc, v31, v21
	v_lshlrev_b64 v[23:24], 2, v[24:25]
	v_mad_u64_u32 v[29:30], s[6:7], s9, v30, v[7:8]
	v_addc_co_u32_e32 v22, vcc, v32, v22, vcc
	v_add_co_u32_e32 v23, vcc, v31, v23
	v_lshlrev_b64 v[25:26], 2, v[26:27]
	v_addc_co_u32_e32 v24, vcc, v32, v24, vcc
	v_add_co_u32_e32 v25, vcc, v31, v25
	v_lshlrev_b64 v[27:28], 2, v[28:29]
	v_addc_co_u32_e32 v26, vcc, v32, v26, vcc
	global_load_dword v7, v[1:2], off
	global_load_dword v29, v[3:4], off
	global_load_dword v30, v[15:16], off
	global_load_dword v33, v[5:6], off
	global_load_dword v34, v[17:18], off
	global_load_dword v35, v[19:20], off
	global_load_dword v36, v[21:22], off
	global_load_dword v37, v[23:24], off
	v_add_co_u32_e32 v1, vcc, v31, v27
	v_addc_co_u32_e32 v2, vcc, v32, v28, vcc
	global_load_dword v3, v[25:26], off
	global_load_dword v4, v[1:2], off
	v_mul_u32_u24_e32 v1, 0x280, v13
	v_add3_u32 v1, 0, v1, v14
	s_waitcnt vmcnt(8)
	ds_write2_b32 v1, v7, v29 offset1:16
	s_waitcnt vmcnt(6)
	ds_write2_b32 v1, v30, v33 offset0:32 offset1:48
	s_waitcnt vmcnt(4)
	ds_write2_b32 v1, v34, v35 offset0:64 offset1:80
	;; [unrolled: 2-line block ×4, first 2 shown]
.LBB0_14:
	s_or_b64 exec, exec, s[0:1]
	s_add_u32 s0, 0, 0x55540000
	s_addc_u32 s1, 0, 0x55
	s_add_i32 s1, s1, 0x15555500
	s_mul_hi_u32 s17, s0, -12
	s_sub_i32 s17, s17, s0
	s_mul_i32 s18, s1, -12
	s_mul_i32 s6, s0, -12
	s_add_i32 s17, s17, s18
	s_mul_hi_u32 s7, s1, s6
	s_mul_i32 s16, s1, s6
	s_mul_i32 s19, s0, s17
	s_mul_hi_u32 s6, s0, s6
	s_mul_hi_u32 s18, s0, s17
	s_add_u32 s6, s6, s19
	s_addc_u32 s18, 0, s18
	s_add_u32 s6, s6, s16
	s_mul_hi_u32 s19, s1, s17
	s_addc_u32 s6, s18, s7
	v_lshrrev_b32_e32 v1, 4, v0
	s_addc_u32 s7, s19, 0
	s_mul_i32 s16, s1, s17
	v_mov_b32_e32 v2, s33
	v_add_co_u32_e32 v5, vcc, s36, v1
	s_add_u32 s6, s6, s16
	v_addc_co_u32_e32 v6, vcc, 0, v2, vcc
	v_mov_b32_e32 v1, s6
	s_addc_u32 s7, 0, s7
	v_add_co_u32_e32 v3, vcc, s0, v1
	s_cmp_lg_u64 vcc, 0
	s_addc_u32 s6, s1, s7
	v_mad_u64_u32 v[1:2], s[0:1], v5, s6, 0
	v_mul_hi_u32 v4, v5, v3
	v_and_b32_e32 v17, 15, v0
	s_waitcnt lgkmcnt(0)
	s_barrier
	v_add_co_u32_e32 v7, vcc, v4, v1
	v_addc_co_u32_e32 v15, vcc, 0, v2, vcc
	v_mad_u64_u32 v[1:2], s[0:1], v6, v3, 0
	v_mad_u64_u32 v[3:4], s[0:1], v6, s6, 0
	v_add_co_u32_e32 v1, vcc, v7, v1
	v_addc_co_u32_e32 v1, vcc, v15, v2, vcc
	v_addc_co_u32_e32 v2, vcc, 0, v4, vcc
	v_add_co_u32_e32 v1, vcc, v1, v3
	v_addc_co_u32_e32 v3, vcc, 0, v2, vcc
	v_mad_u64_u32 v[1:2], s[0:1], v1, 12, 0
	v_mad_u64_u32 v[2:3], s[0:1], v3, 12, v[2:3]
	v_sub_co_u32_e32 v1, vcc, v5, v1
	v_subb_co_u32_e32 v2, vcc, v6, v2, vcc
	v_subrev_co_u32_e32 v3, vcc, 12, v1
	v_subbrev_co_u32_e32 v4, vcc, 0, v2, vcc
	v_cmp_lt_u32_e32 vcc, 11, v3
	v_cndmask_b32_e64 v5, 0, -1, vcc
	v_cmp_eq_u32_e32 vcc, 0, v4
	v_cndmask_b32_e32 v4, -1, v5, vcc
	v_add_u32_e32 v5, -12, v3
	v_cmp_ne_u32_e32 vcc, 0, v4
	v_cndmask_b32_e32 v3, v3, v5, vcc
	v_cmp_lt_u32_e32 vcc, 11, v1
	v_cndmask_b32_e64 v4, 0, -1, vcc
	v_cmp_eq_u32_e32 vcc, 0, v2
	v_cndmask_b32_e32 v2, -1, v4, vcc
	v_cmp_ne_u32_e32 vcc, 0, v2
	v_cndmask_b32_e32 v1, v1, v3, vcc
	v_mul_u32_u24_e32 v21, 0xa0, v1
	v_lshlrev_b32_e32 v1, 2, v17
	v_lshlrev_b32_e32 v2, 2, v21
	v_add_u32_e32 v3, 0, v1
	v_add_u32_e32 v15, v3, v2
	ds_read2_b32 v[18:19], v15 offset0:16 offset1:32
	ds_read2_b32 v[23:24], v15 offset0:96 offset1:112
	;; [unrolled: 1-line block ×3, first 2 shown]
	ds_read_b32 v16, v15 offset:608
	v_add_u32_e32 v26, 0, v2
	v_add_u32_e32 v22, v26, v1
	ds_read_b32 v27, v22
	s_waitcnt lgkmcnt(3)
	v_pk_add_f16 v5, v19, v24 neg_lo:[0,1] neg_hi:[0,1]
	v_pk_fma_f16 v4, v19, 2.0, v5 op_sel_hi:[1,0,1] neg_lo:[0,0,1] neg_hi:[0,0,1]
	s_waitcnt lgkmcnt(1)
	v_pk_add_f16 v19, v6, v16 neg_lo:[0,1] neg_hi:[0,1]
	v_pk_fma_f16 v1, v6, 2.0, v19 op_sel_hi:[1,0,1] neg_lo:[0,0,1] neg_hi:[0,0,1]
	v_pk_add_f16 v16, v5, v19 op_sel:[0,1] op_sel_hi:[1,0] neg_lo:[0,1] neg_hi:[0,1]
	v_pk_add_f16 v6, v5, v19 op_sel:[0,1] op_sel_hi:[1,0]
	ds_read2_b32 v[19:20], v15 offset0:40 offset1:56
	ds_read2_b32 v[24:25], v15 offset0:120 offset1:136
	s_waitcnt lgkmcnt(2)
	v_pk_add_f16 v7, v27, v7 neg_lo:[0,1] neg_hi:[0,1]
	v_alignbit_b32 v31, s0, v7, 16
	v_pk_fma_f16 v27, v27, 2.0, v7 op_sel_hi:[1,0,1] neg_lo:[0,0,1] neg_hi:[0,0,1]
	v_lshrrev_b32_e32 v30, 16, v7
	s_waitcnt lgkmcnt(0)
	v_pk_add_f16 v24, v19, v24 neg_lo:[0,1] neg_hi:[0,1]
	v_alignbit_b32 v29, s0, v24, 16
	v_pk_fma_f16 v19, v19, 2.0, v24 op_sel_hi:[1,0,1] neg_lo:[0,0,1] neg_hi:[0,0,1]
	v_pk_add_f16 v29, v7, v29 neg_lo:[0,1] neg_hi:[0,1]
	v_pk_add_f16 v24, v31, v24
	v_pk_add_f16 v23, v18, v23 neg_lo:[0,1] neg_hi:[0,1]
	v_pk_add_f16 v25, v20, v25 neg_lo:[0,1] neg_hi:[0,1]
	v_mad_u32_u24 v3, v17, 12, v3
	v_pk_add_f16 v19, v27, v19 neg_lo:[0,1] neg_hi:[0,1]
	v_fma_f16 v7, v7, 2.0, -v29
	v_fma_f16 v30, v30, 2.0, -v24
	v_alignbit_b32 v31, s0, v25, 16
	v_alignbit_b32 v33, s0, v23, 16
	v_add_u32_e32 v28, v3, v2
	v_pk_fma_f16 v27, v27, 2.0, v19 op_sel_hi:[1,0,1] neg_lo:[0,0,1] neg_hi:[0,0,1]
	v_pk_fma_f16 v18, v18, 2.0, v23 op_sel_hi:[1,0,1] neg_lo:[0,0,1] neg_hi:[0,0,1]
	;; [unrolled: 1-line block ×3, first 2 shown]
	v_pk_add_f16 v31, v23, v31 neg_lo:[0,1] neg_hi:[0,1]
	v_lshrrev_b32_e32 v32, 16, v23
	v_pk_add_f16 v25, v33, v25
	v_pack_b32_f16 v7, v7, v30
	v_pk_add_f16 v20, v18, v20 neg_lo:[0,1] neg_hi:[0,1]
	v_fma_f16 v23, v23, 2.0, -v31
	v_fma_f16 v32, v32, 2.0, -v25
	s_barrier
	ds_write2_b32 v28, v27, v7 offset1:1
	v_pack_b32_f16 v7, v29, v24
	v_lshl_add_u32 v26, v17, 4, v26
	v_pk_fma_f16 v18, v18, 2.0, v20 op_sel_hi:[1,0,1] neg_lo:[0,0,1] neg_hi:[0,0,1]
	ds_write2_b32 v28, v19, v7 offset0:2 offset1:3
	v_pack_b32_f16 v7, v23, v32
	ds_write2_b32 v26, v18, v7 offset0:64 offset1:65
	v_pack_b32_f16 v7, v31, v25
	v_cmp_gt_u32_e32 vcc, 8, v17
	v_cmp_lt_u32_e64 s[0:1], 7, v17
	v_lshrrev_b32_e32 v18, 16, v6
	ds_write2_b32 v26, v20, v7 offset0:66 offset1:67
	s_and_saveexec_b64 s[6:7], s[0:1]
	s_xor_b64 s[0:1], exec, s[6:7]
; %bb.15:
                                        ; implicit-def: $vgpr6
                                        ; implicit-def: $vgpr5
; %bb.16:
	s_or_saveexec_b64 s[0:1], s[0:1]
	v_pk_add_f16 v1, v4, v1 neg_lo:[0,1] neg_hi:[0,1]
	v_or_b32_e32 v19, 32, v17
	s_xor_b64 exec, exec, s[0:1]
	s_cbranch_execz .LBB0_18
; %bb.17:
	s_mov_b32 s6, 0xffff
	v_lshlrev_b32_e32 v7, 4, v19
	v_bfi_b32 v6, s6, v16, v6
	v_add3_u32 v7, 0, v7, v2
	v_pk_fma_f16 v4, v4, 2.0, v1 op_sel_hi:[1,0,1] neg_lo:[0,0,1] neg_hi:[0,0,1]
	v_pk_fma_f16 v5, v5, 2.0, v6 op_sel_hi:[1,0,1] neg_lo:[0,0,1] neg_hi:[0,0,1]
	ds_write2_b32 v7, v4, v5 offset1:1
	ds_write2_b32 v7, v1, v6 offset0:2 offset1:3
.LBB0_18:
	s_or_b64 exec, exec, s[0:1]
	v_and_b32_e32 v34, 3, v0
	v_mul_u32_u24_e32 v0, 9, v34
	v_lshlrev_b32_e32 v0, 2, v0
	s_waitcnt lgkmcnt(0)
	s_barrier
	global_load_dwordx4 v[4:7], v0, s[14:15]
	global_load_dwordx4 v[24:27], v0, s[14:15] offset:16
	global_load_dword v35, v0, s[14:15] offset:32
	v_mad_i32_i24 v23, v17, -12, v3
	v_add_u32_e32 v20, v23, v2
	ds_read2_b32 v[28:29], v20 offset0:16 offset1:32
	ds_read2_b32 v[30:31], v20 offset0:48 offset1:64
	;; [unrolled: 1-line block ×3, first 2 shown]
	ds_read_b32 v0, v15 offset:448
	s_movk_i32 s0, 0x3b9c
	s_waitcnt lgkmcnt(3)
	v_lshrrev_b32_e32 v3, 16, v28
	v_lshrrev_b32_e32 v36, 16, v29
	s_waitcnt lgkmcnt(2)
	v_lshrrev_b32_e32 v37, 16, v30
	v_lshrrev_b32_e32 v38, 16, v31
	s_mov_b32 s6, 0xbb9c
	s_movk_i32 s7, 0x38b4
	s_mov_b32 s1, 0xb8b4
	s_movk_i32 s16, 0x34f2
	s_movk_i32 s17, 0x3a79
	s_waitcnt vmcnt(2)
	v_mul_f16_sdwa v39, v4, v3 dst_sel:DWORD dst_unused:UNUSED_PAD src0_sel:WORD_1 src1_sel:DWORD
	v_mul_f16_sdwa v40, v4, v28 dst_sel:DWORD dst_unused:UNUSED_PAD src0_sel:WORD_1 src1_sel:DWORD
	v_mul_f16_sdwa v41, v5, v36 dst_sel:DWORD dst_unused:UNUSED_PAD src0_sel:WORD_1 src1_sel:DWORD
	v_fma_f16 v28, v4, v28, -v39
	v_fma_f16 v39, v5, v29, -v41
	v_mul_f16_sdwa v29, v5, v29 dst_sel:DWORD dst_unused:UNUSED_PAD src0_sel:WORD_1 src1_sel:DWORD
	v_mul_f16_sdwa v41, v6, v37 dst_sel:DWORD dst_unused:UNUSED_PAD src0_sel:WORD_1 src1_sel:DWORD
	v_fma_f16 v40, v4, v3, v40
	v_mul_f16_sdwa v3, v6, v30 dst_sel:DWORD dst_unused:UNUSED_PAD src0_sel:WORD_1 src1_sel:DWORD
	v_mul_f16_sdwa v4, v7, v38 dst_sel:DWORD dst_unused:UNUSED_PAD src0_sel:WORD_1 src1_sel:DWORD
	v_fma_f16 v5, v5, v36, v29
	v_fma_f16 v29, v6, v37, v3
	v_mul_f16_sdwa v36, v7, v31 dst_sel:DWORD dst_unused:UNUSED_PAD src0_sel:WORD_1 src1_sel:DWORD
	v_fma_f16 v6, v6, v30, -v41
	v_fma_f16 v30, v7, v31, -v4
	ds_read2_b32 v[3:4], v20 offset0:128 offset1:144
	v_fma_f16 v7, v7, v38, v36
	s_waitcnt lgkmcnt(2)
	v_lshrrev_b32_e32 v31, 16, v33
	v_lshrrev_b32_e32 v36, 16, v32
	s_waitcnt vmcnt(1)
	v_mul_f16_sdwa v37, v24, v36 dst_sel:DWORD dst_unused:UNUSED_PAD src0_sel:WORD_1 src1_sel:DWORD
	v_mul_f16_sdwa v41, v31, v25 dst_sel:DWORD dst_unused:UNUSED_PAD src0_sel:DWORD src1_sel:WORD_1
	v_mul_f16_sdwa v38, v24, v32 dst_sel:DWORD dst_unused:UNUSED_PAD src0_sel:WORD_1 src1_sel:DWORD
	v_fma_f16 v32, v24, v32, -v37
	v_fma_f16 v37, v33, v25, -v41
	v_mul_f16_sdwa v33, v33, v25 dst_sel:DWORD dst_unused:UNUSED_PAD src0_sel:DWORD src1_sel:WORD_1
	s_waitcnt lgkmcnt(1)
	v_lshrrev_b32_e32 v41, 16, v0
	v_fma_f16 v25, v31, v25, v33
	v_mul_f16_sdwa v31, v41, v26 dst_sel:DWORD dst_unused:UNUSED_PAD src0_sel:DWORD src1_sel:WORD_1
	v_fma_f16 v24, v24, v36, v38
	s_waitcnt lgkmcnt(0)
	v_lshrrev_b32_e32 v36, 16, v3
	v_fma_f16 v31, v0, v26, -v31
	v_mul_f16_sdwa v0, v0, v26 dst_sel:DWORD dst_unused:UNUSED_PAD src0_sel:DWORD src1_sel:WORD_1
	v_fma_f16 v0, v41, v26, v0
	v_mul_f16_sdwa v26, v3, v27 dst_sel:DWORD dst_unused:UNUSED_PAD src0_sel:DWORD src1_sel:WORD_1
	v_mul_f16_sdwa v33, v36, v27 dst_sel:DWORD dst_unused:UNUSED_PAD src0_sel:DWORD src1_sel:WORD_1
	v_fma_f16 v26, v36, v27, v26
	v_fma_f16 v3, v3, v27, -v33
	ds_read_b32 v27, v22
	v_lshrrev_b32_e32 v33, 16, v4
	s_waitcnt vmcnt(0)
	v_mul_f16_sdwa v36, v33, v35 dst_sel:DWORD dst_unused:UNUSED_PAD src0_sel:DWORD src1_sel:WORD_1
	v_mul_f16_sdwa v38, v4, v35 dst_sel:DWORD dst_unused:UNUSED_PAD src0_sel:DWORD src1_sel:WORD_1
	v_fma_f16 v4, v4, v35, -v36
	v_fma_f16 v33, v33, v35, v38
	v_sub_f16_e32 v36, v39, v30
	v_sub_f16_e32 v38, v3, v37
	;; [unrolled: 1-line block ×3, first 2 shown]
	v_add_f16_e32 v36, v36, v38
	v_sub_f16_e32 v38, v37, v3
	v_add_f16_e32 v35, v30, v37
	v_add_f16_e32 v38, v41, v38
	;; [unrolled: 1-line block ×3, first 2 shown]
	s_waitcnt lgkmcnt(0)
	v_fma_f16 v35, v35, -0.5, v27
	v_fma_f16 v41, v41, -0.5, v27
	v_sub_f16_e32 v42, v5, v26
	v_sub_f16_e32 v44, v7, v25
	v_fma_f16 v43, v42, s0, v35
	v_fma_f16 v35, v42, s6, v35
	;; [unrolled: 1-line block ×12, first 2 shown]
	v_add_f16_e32 v41, v27, v39
	v_add_f16_e32 v41, v41, v30
	;; [unrolled: 1-line block ×4, first 2 shown]
	v_sub_f16_e32 v3, v39, v3
	v_sub_f16_e32 v30, v30, v37
	;; [unrolled: 1-line block ×4, first 2 shown]
	v_add_f16_e32 v37, v37, v39
	v_lshrrev_b32_e32 v27, 16, v27
	v_add_f16_e32 v39, v7, v25
	v_fma_f16 v39, v39, -0.5, v27
	v_fma_f16 v43, v3, s6, v39
	v_fma_f16 v39, v3, s0, v39
	;; [unrolled: 1-line block ×6, first 2 shown]
	v_add_f16_e32 v39, v5, v26
	v_fma_f16 v39, v39, -0.5, v27
	v_add_f16_e32 v27, v27, v5
	v_add_f16_e32 v27, v27, v7
	v_sub_f16_e32 v5, v7, v5
	v_add_f16_e32 v7, v27, v25
	v_sub_f16_e32 v25, v25, v26
	v_add_f16_e32 v7, v7, v26
	v_add_f16_e32 v5, v5, v25
	v_fma_f16 v25, v30, s0, v39
	v_fma_f16 v26, v30, s6, v39
	;; [unrolled: 1-line block ×6, first 2 shown]
	v_add_f16_e32 v5, v32, v31
	v_sub_f16_e32 v26, v6, v32
	v_sub_f16_e32 v27, v4, v31
	v_fma_f16 v5, v5, -0.5, v28
	v_add_f16_e32 v26, v26, v27
	v_sub_f16_e32 v27, v29, v33
	v_fma_f16 v30, v27, s0, v5
	v_sub_f16_e32 v39, v24, v0
	v_fma_f16 v5, v27, s6, v5
	v_fma_f16 v30, v39, s7, v30
	;; [unrolled: 1-line block ×5, first 2 shown]
	v_sub_f16_e32 v26, v32, v6
	v_sub_f16_e32 v44, v31, v4
	v_add_f16_e32 v26, v26, v44
	v_add_f16_e32 v44, v6, v4
	v_fma_f16 v44, v44, -0.5, v28
	v_fma_f16 v45, v39, s6, v44
	v_fma_f16 v39, v39, s0, v44
	;; [unrolled: 1-line block ×6, first 2 shown]
	v_add_f16_e32 v27, v28, v6
	v_add_f16_e32 v27, v27, v32
	;; [unrolled: 1-line block ×4, first 2 shown]
	v_sub_f16_e32 v4, v6, v4
	v_sub_f16_e32 v6, v32, v31
	v_sub_f16_e32 v28, v29, v24
	v_sub_f16_e32 v31, v33, v0
	v_add_f16_e32 v28, v28, v31
	v_add_f16_e32 v31, v24, v0
	v_fma_f16 v31, v31, -0.5, v40
	v_fma_f16 v32, v4, s6, v31
	v_fma_f16 v31, v4, s0, v31
	;; [unrolled: 1-line block ×6, first 2 shown]
	v_add_f16_e32 v31, v29, v33
	v_fma_f16 v31, v31, -0.5, v40
	v_add_f16_e32 v40, v40, v29
	v_add_f16_e32 v40, v40, v24
	v_sub_f16_e32 v24, v24, v29
	v_add_f16_e32 v29, v40, v0
	v_sub_f16_e32 v0, v0, v33
	v_add_f16_e32 v0, v24, v0
	v_fma_f16 v24, v6, s0, v31
	v_fma_f16 v6, v6, s6, v31
	;; [unrolled: 1-line block ×6, first 2 shown]
	v_mul_f16_e32 v0, 0x38b4, v32
	v_fma_f16 v31, v30, s17, v0
	v_mul_f16_e32 v30, 0xb8b4, v30
	v_fma_f16 v30, v32, s17, v30
	;; [unrolled: 2-line block ×4, first 2 shown]
	v_mul_f16_e32 v24, 0x34f2, v26
	v_fma_f16 v24, v4, s0, -v24
	v_mul_f16_e32 v4, 0x34f2, v4
	v_mul_f16_e32 v0, 0x3a79, v5
	v_fma_f16 v4, v26, s6, -v4
	v_add_f16_e32 v29, v29, v33
	v_fma_f16 v33, v28, s7, -v0
	v_add_f16_e32 v40, v36, v32
	v_mul_f16_e32 v26, 0x3a79, v28
	v_add_f16_e32 v28, v38, v24
	v_sub_f16_e32 v32, v36, v32
	v_add_f16_e32 v36, v25, v39
	v_sub_f16_e32 v24, v38, v24
	;; [unrolled: 2-line block ×3, first 2 shown]
	v_sub_f16_e32 v25, v3, v4
	v_lshrrev_b32_e32 v3, 2, v17
	v_mul_u32_u24_e32 v3, 40, v3
	v_or_b32_e32 v3, v3, v34
	v_add_f16_e32 v6, v41, v27
	v_sub_f16_e32 v0, v35, v33
	v_add_f16_e32 v33, v35, v33
	v_add_f16_e32 v35, v42, v31
	v_sub_f16_e32 v27, v41, v27
	v_add_f16_e32 v41, v7, v29
	v_sub_f16_e32 v31, v42, v31
	v_add_f16_e32 v42, v43, v30
	v_lshlrev_b32_e32 v3, 2, v3
	v_fma_f16 v5, v5, s1, -v26
	v_add3_u32 v2, 0, v3, v2
	v_pack_b32_f16 v3, v6, v41
	v_pack_b32_f16 v4, v35, v42
	v_sub_f16_e32 v7, v7, v29
	v_add_f16_e32 v29, v37, v5
	s_barrier
	ds_write2_b32 v2, v3, v4 offset1:4
	v_pack_b32_f16 v3, v40, v36
	v_pack_b32_f16 v4, v28, v38
	v_sub_f16_e32 v30, v43, v30
	ds_write2_b32 v2, v3, v4 offset0:8 offset1:12
	v_pack_b32_f16 v3, v33, v29
	v_pack_b32_f16 v4, v27, v7
	v_sub_f16_e32 v26, v37, v5
	ds_write2_b32 v2, v3, v4 offset0:16 offset1:20
	v_pack_b32_f16 v3, v31, v30
	v_pack_b32_f16 v4, v32, v39
	ds_write2_b32 v2, v3, v4 offset0:24 offset1:28
	v_pack_b32_f16 v3, v24, v25
	v_pack_b32_f16 v4, v0, v26
	ds_write2_b32 v2, v3, v4 offset0:32 offset1:36
	s_waitcnt lgkmcnt(0)
	s_barrier
	ds_read2_b32 v[2:3], v15 offset0:40 offset1:56
	ds_read2_b32 v[4:5], v15 offset0:80 offset1:96
	;; [unrolled: 1-line block ×3, first 2 shown]
	ds_read_b32 v27, v22
	ds_read_b32 v22, v20 offset:64
	s_and_saveexec_b64 s[0:1], vcc
	s_cbranch_execz .LBB0_20
; %bb.19:
	ds_read_b32 v24, v20 offset:128
	ds_read_b32 v16, v15 offset:608
	ds_read2_b32 v[0:1], v15 offset0:72 offset1:112
	s_waitcnt lgkmcnt(2)
	v_lshrrev_b32_e32 v25, 16, v24
	s_waitcnt lgkmcnt(1)
	v_lshrrev_b32_e32 v18, 16, v16
	;; [unrolled: 2-line block ×3, first 2 shown]
.LBB0_20:
	s_or_b64 exec, exec, s[0:1]
	v_mul_u32_u24_e32 v28, 3, v17
	v_lshlrev_b32_e32 v34, 2, v28
	global_load_dwordx3 v[28:30], v34, s[14:15] offset:144
	global_load_dwordx3 v[31:33], v34, s[14:15] offset:336
	s_waitcnt lgkmcnt(2)
	v_lshrrev_b32_e32 v38, 16, v6
	v_lshrrev_b32_e32 v39, 16, v4
	;; [unrolled: 1-line block ×6, first 2 shown]
	v_lshl_add_u32 v21, v21, 2, v23
	s_waitcnt lgkmcnt(1)
	v_lshrrev_b32_e32 v23, 16, v27
	s_waitcnt lgkmcnt(0)
	v_lshrrev_b32_e32 v34, 16, v22
	v_cmp_gt_u32_e64 s[0:1], 40, v19
	s_waitcnt vmcnt(0)
	s_barrier
	v_mul_f16_sdwa v41, v28, v40 dst_sel:DWORD dst_unused:UNUSED_PAD src0_sel:WORD_1 src1_sel:DWORD
	v_mul_f16_sdwa v42, v28, v2 dst_sel:DWORD dst_unused:UNUSED_PAD src0_sel:WORD_1 src1_sel:DWORD
	;; [unrolled: 1-line block ×12, first 2 shown]
	v_fma_f16 v40, v28, v40, v42
	v_fma_f16 v39, v29, v39, v44
	v_fma_f16 v2, v28, v2, -v41
	v_fma_f16 v4, v29, v4, -v43
	v_fma_f16 v6, v30, v6, -v45
	v_fma_f16 v28, v30, v38, v46
	v_fma_f16 v3, v31, v3, -v47
	v_fma_f16 v29, v31, v37, v48
	v_fma_f16 v5, v32, v5, -v49
	;; [unrolled: 2-line block ×3, first 2 shown]
	v_fma_f16 v31, v33, v35, v52
	v_sub_f16_e32 v4, v27, v4
	v_sub_f16_e32 v32, v23, v39
	;; [unrolled: 1-line block ×8, first 2 shown]
	v_fma_f16 v27, v27, 2.0, -v4
	v_fma_f16 v23, v23, 2.0, -v32
	v_fma_f16 v2, v2, 2.0, -v6
	v_fma_f16 v33, v40, 2.0, -v28
	v_sub_f16_e32 v28, v4, v28
	v_add_f16_e32 v6, v32, v6
	v_fma_f16 v22, v22, 2.0, -v5
	v_fma_f16 v34, v34, 2.0, -v30
	;; [unrolled: 1-line block ×4, first 2 shown]
	v_sub_f16_e32 v2, v27, v2
	v_sub_f16_e32 v33, v23, v33
	v_fma_f16 v4, v4, 2.0, -v28
	v_fma_f16 v32, v32, 2.0, -v6
	v_sub_f16_e32 v3, v22, v3
	v_sub_f16_e32 v29, v34, v29
	v_fma_f16 v27, v27, 2.0, -v2
	v_fma_f16 v23, v23, 2.0, -v33
	v_sub_f16_e32 v31, v5, v31
	v_add_f16_e32 v7, v30, v7
	v_pack_b32_f16 v6, v28, v6
	v_fma_f16 v22, v22, 2.0, -v3
	v_fma_f16 v28, v34, 2.0, -v29
	v_pack_b32_f16 v4, v4, v32
	v_pack_b32_f16 v2, v2, v33
	;; [unrolled: 1-line block ×3, first 2 shown]
	v_fma_f16 v5, v5, 2.0, -v31
	v_fma_f16 v30, v30, 2.0, -v7
	ds_write2_b32 v15, v2, v6 offset0:80 offset1:120
	v_pack_b32_f16 v2, v22, v28
	ds_write2_b32 v15, v23, v4 offset1:40
	ds_write_b32 v20, v2 offset:64
	ds_write_b16 v21, v5 offset:224
	ds_write_b16 v21, v30 offset:226
	;; [unrolled: 1-line block ×6, first 2 shown]
	s_and_saveexec_b64 s[6:7], vcc
	s_cbranch_execz .LBB0_22
; %bb.21:
	v_add_u32_e32 v2, -8, v17
	v_cndmask_b32_e64 v2, v2, v19, s[0:1]
	v_mul_i32_i24_e32 v2, 3, v2
	v_mov_b32_e32 v3, 0
	v_lshlrev_b64 v[2:3], 2, v[2:3]
	v_mov_b32_e32 v4, s15
	v_add_co_u32_e32 v2, vcc, s14, v2
	v_addc_co_u32_e32 v3, vcc, v4, v3, vcc
	global_load_dwordx3 v[2:4], v[2:3], off offset:144
	v_lshrrev_b32_e32 v5, 16, v1
	s_waitcnt vmcnt(0)
	v_mul_f16_sdwa v6, v5, v3 dst_sel:DWORD dst_unused:UNUSED_PAD src0_sel:DWORD src1_sel:WORD_1
	v_mul_f16_sdwa v7, v0, v2 dst_sel:DWORD dst_unused:UNUSED_PAD src0_sel:DWORD src1_sel:WORD_1
	;; [unrolled: 1-line block ×6, first 2 shown]
	v_fma_f16 v1, v1, v3, -v6
	v_fma_f16 v6, v26, v2, v7
	v_fma_f16 v7, v18, v4, v17
	;; [unrolled: 1-line block ×3, first 2 shown]
	v_fma_f16 v0, v0, v2, -v21
	v_fma_f16 v2, v16, v4, -v22
	v_sub_f16_e32 v1, v24, v1
	v_sub_f16_e32 v4, v6, v7
	v_sub_f16_e32 v3, v25, v3
	v_sub_f16_e32 v2, v0, v2
	v_sub_f16_e32 v5, v1, v4
	v_add_f16_e32 v7, v3, v2
	v_fma_f16 v16, v24, 2.0, -v1
	v_fma_f16 v0, v0, 2.0, -v2
	;; [unrolled: 1-line block ×4, first 2 shown]
	v_sub_f16_e32 v0, v16, v0
	v_sub_f16_e32 v4, v2, v4
	v_fma_f16 v6, v16, 2.0, -v0
	v_fma_f16 v2, v2, 2.0, -v4
	;; [unrolled: 1-line block ×4, first 2 shown]
	v_pack_b32_f16 v2, v6, v2
	v_pack_b32_f16 v5, v5, v7
	;; [unrolled: 1-line block ×4, first 2 shown]
	ds_write_b32 v20, v2 offset:128
	ds_write2_b32 v15, v1, v0 offset0:72 offset1:112
	ds_write_b32 v15, v5 offset:608
.LBB0_22:
	s_or_b64 exec, exec, s[6:7]
	s_waitcnt lgkmcnt(0)
	s_barrier
	s_and_saveexec_b64 s[0:1], s[4:5]
	s_cbranch_execz .LBB0_24
; %bb.23:
	v_mad_u64_u32 v[0:1], s[0:1], s10, v13, 0
	v_mad_u64_u32 v[2:3], s[0:1], s8, v8, 0
	;; [unrolled: 1-line block ×3, first 2 shown]
	v_mov_b32_e32 v1, v3
	v_mad_u64_u32 v[5:6], s[0:1], s9, v8, v[1:2]
	s_lshl_b64 s[0:1], s[2:3], 2
	s_add_u32 s2, s12, s0
	v_mov_b32_e32 v1, v4
	v_mul_u32_u24_e32 v4, 0x280, v13
	s_addc_u32 s0, s13, s1
	v_add3_u32 v13, 0, v4, v14
	v_mov_b32_e32 v14, s0
	v_mad_u64_u32 v[6:7], s[0:1], s8, v12, 0
	v_lshlrev_b64 v[0:1], 2, v[0:1]
	v_mov_b32_e32 v3, v5
	v_add_co_u32_e32 v15, vcc, s2, v0
	v_addc_co_u32_e32 v14, vcc, v14, v1, vcc
	v_lshlrev_b64 v[0:1], 2, v[2:3]
	v_mov_b32_e32 v2, v7
	ds_read2_b32 v[4:5], v13 offset1:16
	v_mad_u64_u32 v[2:3], s[0:1], s9, v12, v[2:3]
	v_add_co_u32_e32 v0, vcc, v15, v0
	v_addc_co_u32_e32 v1, vcc, v14, v1, vcc
	v_mov_b32_e32 v7, v2
	s_waitcnt lgkmcnt(0)
	global_store_dword v[0:1], v4, off
	v_lshlrev_b64 v[0:1], 2, v[6:7]
	v_mad_u64_u32 v[2:3], s[0:1], s8, v11, 0
	v_add_co_u32_e32 v0, vcc, v15, v0
	v_addc_co_u32_e32 v1, vcc, v14, v1, vcc
	global_store_dword v[0:1], v5, off
	v_mov_b32_e32 v0, v3
	v_mad_u64_u32 v[0:1], s[0:1], s9, v11, v[0:1]
	v_mad_u64_u32 v[4:5], s[0:1], s8, v10, 0
	v_mov_b32_e32 v3, v0
	ds_read2_b32 v[0:1], v13 offset0:32 offset1:48
	v_lshlrev_b64 v[2:3], 2, v[2:3]
	v_mad_u64_u32 v[5:6], s[0:1], s9, v10, v[5:6]
	v_add_co_u32_e32 v2, vcc, v15, v2
	v_addc_co_u32_e32 v3, vcc, v14, v3, vcc
	s_waitcnt lgkmcnt(0)
	global_store_dword v[2:3], v0, off
	v_lshlrev_b64 v[2:3], 2, v[4:5]
	v_mad_u64_u32 v[4:5], s[0:1], s8, v9, 0
	v_add_co_u32_e32 v2, vcc, v15, v2
	v_addc_co_u32_e32 v3, vcc, v14, v3, vcc
	v_mov_b32_e32 v0, v5
	global_store_dword v[2:3], v1, off
	v_mad_u64_u32 v[0:1], s[0:1], s9, v9, v[0:1]
	v_add_u32_e32 v9, 0x50, v8
	v_mad_u64_u32 v[1:2], s[0:1], s8, v9, 0
	v_mov_b32_e32 v5, v0
	ds_read2_b32 v[6:7], v13 offset0:64 offset1:80
	v_mov_b32_e32 v0, v2
	v_lshlrev_b64 v[3:4], 2, v[4:5]
	v_mad_u64_u32 v[9:10], s[0:1], s9, v9, v[0:1]
	v_add_co_u32_e32 v2, vcc, v15, v3
	v_addc_co_u32_e32 v3, vcc, v14, v4, vcc
	s_waitcnt lgkmcnt(0)
	global_store_dword v[2:3], v6, off
	v_mov_b32_e32 v2, v9
	v_or_b32_e32 v4, 0x60, v8
	v_lshlrev_b64 v[0:1], 2, v[1:2]
	v_mad_u64_u32 v[2:3], s[0:1], s8, v4, 0
	v_add_co_u32_e32 v0, vcc, v15, v0
	v_addc_co_u32_e32 v1, vcc, v14, v1, vcc
	global_store_dword v[0:1], v7, off
	v_mov_b32_e32 v0, v3
	v_mad_u64_u32 v[0:1], s[0:1], s9, v4, v[0:1]
	v_add_u32_e32 v6, 0x70, v8
	v_mad_u64_u32 v[4:5], s[0:1], s8, v6, 0
	v_mov_b32_e32 v3, v0
	ds_read2_b32 v[0:1], v13 offset0:96 offset1:112
	v_lshlrev_b64 v[2:3], 2, v[2:3]
	v_mad_u64_u32 v[5:6], s[0:1], s9, v6, v[5:6]
	v_add_co_u32_e32 v2, vcc, v15, v2
	v_addc_co_u32_e32 v3, vcc, v14, v3, vcc
	v_or_b32_e32 v6, 0x80, v8
	s_waitcnt lgkmcnt(0)
	global_store_dword v[2:3], v0, off
	v_lshlrev_b64 v[2:3], 2, v[4:5]
	v_mad_u64_u32 v[4:5], s[0:1], s8, v6, 0
	v_add_co_u32_e32 v2, vcc, v15, v2
	v_addc_co_u32_e32 v3, vcc, v14, v3, vcc
	v_mov_b32_e32 v0, v5
	global_store_dword v[2:3], v1, off
	v_mad_u64_u32 v[0:1], s[0:1], s9, v6, v[0:1]
	v_add_u32_e32 v8, 0x90, v8
	v_mad_u64_u32 v[1:2], s[0:1], s8, v8, 0
	v_mov_b32_e32 v5, v0
	ds_read2_b32 v[6:7], v13 offset0:128 offset1:144
	v_mov_b32_e32 v0, v2
	v_lshlrev_b64 v[3:4], 2, v[4:5]
	v_mad_u64_u32 v[8:9], s[0:1], s9, v8, v[0:1]
	v_add_co_u32_e32 v2, vcc, v15, v3
	v_addc_co_u32_e32 v3, vcc, v14, v4, vcc
	s_waitcnt lgkmcnt(0)
	global_store_dword v[2:3], v6, off
	v_mov_b32_e32 v2, v8
	v_lshlrev_b64 v[0:1], 2, v[1:2]
	v_add_co_u32_e32 v0, vcc, v15, v0
	v_addc_co_u32_e32 v1, vcc, v14, v1, vcc
	global_store_dword v[0:1], v7, off
.LBB0_24:
	s_endpgm
	.section	.rodata,"a",@progbits
	.p2align	6, 0x0
	.amdhsa_kernel fft_rtc_fwd_len160_factors_4_10_4_wgs_192_tpt_16_half_ip_CI_sbcc
		.amdhsa_group_segment_fixed_size 0
		.amdhsa_private_segment_fixed_size 0
		.amdhsa_kernarg_size 96
		.amdhsa_user_sgpr_count 6
		.amdhsa_user_sgpr_private_segment_buffer 1
		.amdhsa_user_sgpr_dispatch_ptr 0
		.amdhsa_user_sgpr_queue_ptr 0
		.amdhsa_user_sgpr_kernarg_segment_ptr 1
		.amdhsa_user_sgpr_dispatch_id 0
		.amdhsa_user_sgpr_flat_scratch_init 0
		.amdhsa_user_sgpr_private_segment_size 0
		.amdhsa_uses_dynamic_stack 0
		.amdhsa_system_sgpr_private_segment_wavefront_offset 0
		.amdhsa_system_sgpr_workgroup_id_x 1
		.amdhsa_system_sgpr_workgroup_id_y 0
		.amdhsa_system_sgpr_workgroup_id_z 0
		.amdhsa_system_sgpr_workgroup_info 0
		.amdhsa_system_vgpr_workitem_id 0
		.amdhsa_next_free_vgpr 53
		.amdhsa_next_free_sgpr 43
		.amdhsa_reserve_vcc 1
		.amdhsa_reserve_flat_scratch 0
		.amdhsa_float_round_mode_32 0
		.amdhsa_float_round_mode_16_64 0
		.amdhsa_float_denorm_mode_32 3
		.amdhsa_float_denorm_mode_16_64 3
		.amdhsa_dx10_clamp 1
		.amdhsa_ieee_mode 1
		.amdhsa_fp16_overflow 0
		.amdhsa_exception_fp_ieee_invalid_op 0
		.amdhsa_exception_fp_denorm_src 0
		.amdhsa_exception_fp_ieee_div_zero 0
		.amdhsa_exception_fp_ieee_overflow 0
		.amdhsa_exception_fp_ieee_underflow 0
		.amdhsa_exception_fp_ieee_inexact 0
		.amdhsa_exception_int_div_zero 0
	.end_amdhsa_kernel
	.text
.Lfunc_end0:
	.size	fft_rtc_fwd_len160_factors_4_10_4_wgs_192_tpt_16_half_ip_CI_sbcc, .Lfunc_end0-fft_rtc_fwd_len160_factors_4_10_4_wgs_192_tpt_16_half_ip_CI_sbcc
                                        ; -- End function
	.section	.AMDGPU.csdata,"",@progbits
; Kernel info:
; codeLenInByte = 6268
; NumSgprs: 47
; NumVgprs: 53
; ScratchSize: 0
; MemoryBound: 0
; FloatMode: 240
; IeeeMode: 1
; LDSByteSize: 0 bytes/workgroup (compile time only)
; SGPRBlocks: 5
; VGPRBlocks: 13
; NumSGPRsForWavesPerEU: 47
; NumVGPRsForWavesPerEU: 53
; Occupancy: 4
; WaveLimiterHint : 1
; COMPUTE_PGM_RSRC2:SCRATCH_EN: 0
; COMPUTE_PGM_RSRC2:USER_SGPR: 6
; COMPUTE_PGM_RSRC2:TRAP_HANDLER: 0
; COMPUTE_PGM_RSRC2:TGID_X_EN: 1
; COMPUTE_PGM_RSRC2:TGID_Y_EN: 0
; COMPUTE_PGM_RSRC2:TGID_Z_EN: 0
; COMPUTE_PGM_RSRC2:TIDIG_COMP_CNT: 0
	.type	__hip_cuid_a9cacfb94b9922ad,@object ; @__hip_cuid_a9cacfb94b9922ad
	.section	.bss,"aw",@nobits
	.globl	__hip_cuid_a9cacfb94b9922ad
__hip_cuid_a9cacfb94b9922ad:
	.byte	0                               ; 0x0
	.size	__hip_cuid_a9cacfb94b9922ad, 1

	.ident	"AMD clang version 19.0.0git (https://github.com/RadeonOpenCompute/llvm-project roc-6.4.0 25133 c7fe45cf4b819c5991fe208aaa96edf142730f1d)"
	.section	".note.GNU-stack","",@progbits
	.addrsig
	.addrsig_sym __hip_cuid_a9cacfb94b9922ad
	.amdgpu_metadata
---
amdhsa.kernels:
  - .args:
      - .actual_access:  read_only
        .address_space:  global
        .offset:         0
        .size:           8
        .value_kind:     global_buffer
      - .address_space:  global
        .offset:         8
        .size:           8
        .value_kind:     global_buffer
      - .offset:         16
        .size:           8
        .value_kind:     by_value
      - .actual_access:  read_only
        .address_space:  global
        .offset:         24
        .size:           8
        .value_kind:     global_buffer
      - .actual_access:  read_only
        .address_space:  global
        .offset:         32
        .size:           8
        .value_kind:     global_buffer
      - .offset:         40
        .size:           8
        .value_kind:     by_value
      - .actual_access:  read_only
        .address_space:  global
        .offset:         48
        .size:           8
        .value_kind:     global_buffer
      - .actual_access:  read_only
        .address_space:  global
        .offset:         56
        .size:           8
        .value_kind:     global_buffer
      - .offset:         64
        .size:           4
        .value_kind:     by_value
      - .actual_access:  read_only
        .address_space:  global
        .offset:         72
        .size:           8
        .value_kind:     global_buffer
      - .actual_access:  read_only
        .address_space:  global
        .offset:         80
        .size:           8
        .value_kind:     global_buffer
      - .address_space:  global
        .offset:         88
        .size:           8
        .value_kind:     global_buffer
    .group_segment_fixed_size: 0
    .kernarg_segment_align: 8
    .kernarg_segment_size: 96
    .language:       OpenCL C
    .language_version:
      - 2
      - 0
    .max_flat_workgroup_size: 192
    .name:           fft_rtc_fwd_len160_factors_4_10_4_wgs_192_tpt_16_half_ip_CI_sbcc
    .private_segment_fixed_size: 0
    .sgpr_count:     47
    .sgpr_spill_count: 0
    .symbol:         fft_rtc_fwd_len160_factors_4_10_4_wgs_192_tpt_16_half_ip_CI_sbcc.kd
    .uniform_work_group_size: 1
    .uses_dynamic_stack: false
    .vgpr_count:     53
    .vgpr_spill_count: 0
    .wavefront_size: 64
amdhsa.target:   amdgcn-amd-amdhsa--gfx906
amdhsa.version:
  - 1
  - 2
...

	.end_amdgpu_metadata
